;; amdgpu-corpus repo=ROCm/rocFFT kind=compiled arch=gfx950 opt=O3
	.text
	.amdgcn_target "amdgcn-amd-amdhsa--gfx950"
	.amdhsa_code_object_version 6
	.protected	fft_rtc_fwd_len17_factors_17_wgs_120_tpt_1_sp_op_CI_CI_sbrc_xy_z_aligned_dirReg ; -- Begin function fft_rtc_fwd_len17_factors_17_wgs_120_tpt_1_sp_op_CI_CI_sbrc_xy_z_aligned_dirReg
	.globl	fft_rtc_fwd_len17_factors_17_wgs_120_tpt_1_sp_op_CI_CI_sbrc_xy_z_aligned_dirReg
	.p2align	8
	.type	fft_rtc_fwd_len17_factors_17_wgs_120_tpt_1_sp_op_CI_CI_sbrc_xy_z_aligned_dirReg,@function
fft_rtc_fwd_len17_factors_17_wgs_120_tpt_1_sp_op_CI_CI_sbrc_xy_z_aligned_dirReg: ; @fft_rtc_fwd_len17_factors_17_wgs_120_tpt_1_sp_op_CI_CI_sbrc_xy_z_aligned_dirReg
; %bb.0:
	s_load_dwordx4 s[16:19], s[0:1], 0x10
	s_load_dwordx2 s[24:25], s[0:1], 0x20
	s_load_dwordx4 s[8:11], s[0:1], 0x58
	s_mov_b32 s3, 0
	s_mov_b32 s27, s3
	s_waitcnt lgkmcnt(0)
	s_load_dwordx4 s[20:23], s[16:17], 0x8
	s_load_dwordx4 s[12:15], s[18:19], 0x0
	s_waitcnt lgkmcnt(0)
	s_add_i32 s4, s22, -1
	s_mul_hi_u32 s4, s4, 0x88888889
	s_lshr_b32 s4, s4, 6
	s_add_i32 s4, s4, 1
	s_mul_i32 s26, s4, s20
	v_cvt_f32_u32_e32 v1, s26
	s_load_dwordx2 s[22:23], s[18:19], 0x10
	s_load_dwordx4 s[4:7], s[24:25], 0x0
	s_load_dwordx2 s[16:17], s[24:25], 0x10
	s_waitcnt lgkmcnt(0)
	s_sub_i32 s7, 0, s26
	v_mov_b64_e32 v[2:3], s[20:21]
	v_rcp_iflag_f32_e32 v1, v1
	s_nop 0
	v_mul_f32_e32 v1, 0x4f7ffffe, v1
	v_cvt_u32_f32_e32 v4, v1
	v_cvt_f32_u32_e32 v1, s20
	v_readfirstlane_b32 s15, v4
	s_mul_i32 s7, s7, s15
	s_mul_hi_u32 s7, s15, s7
	s_add_i32 s15, s15, s7
	s_mul_hi_u32 s7, s2, s15
	s_mul_i32 s15, s7, s26
	s_sub_i32 s15, s2, s15
	s_add_i32 s17, s7, 1
	s_sub_i32 s23, s15, s26
	s_cmp_ge_u32 s15, s26
	s_cselect_b32 s7, s17, s7
	s_cselect_b32 s15, s23, s15
	s_add_i32 s17, s7, 1
	s_cmp_ge_u32 s15, s26
	s_cselect_b32 s7, s17, s7
	s_mul_i32 s15, s7, s26
	s_sub_i32 s26, s2, s15
	v_cmp_lt_u64_e32 vcc, s[26:27], v[2:3]
	v_mov_b64_e32 v[2:3], 0
	s_cbranch_vccnz .LBB0_2
; %bb.1:
	v_rcp_iflag_f32_e32 v2, v1
	s_sub_i32 s15, 0, s20
	v_mul_f32_e32 v2, 0x4f7ffffe, v2
	v_cvt_u32_f32_e32 v2, v2
	v_mul_lo_u32 v3, s15, v2
	v_mul_hi_u32 v3, v2, v3
	v_add_u32_e32 v2, v2, v3
	v_mul_hi_u32 v2, s26, v2
	v_mul_lo_u32 v4, v2, s20
	v_sub_u32_e32 v4, s26, v4
	v_add_u32_e32 v3, 1, v2
	v_subrev_u32_e32 v5, s20, v4
	v_cmp_le_u32_e32 vcc, s20, v4
	s_nop 1
	v_cndmask_b32_e32 v4, v4, v5, vcc
	v_cndmask_b32_e32 v2, v2, v3, vcc
	v_add_u32_e32 v3, 1, v2
	v_cmp_le_u32_e32 vcc, s20, v4
	s_nop 1
	v_cndmask_b32_e32 v2, v2, v3, vcc
.LBB0_2:
	v_mov_b64_e32 v[4:5], s[20:21]
	v_cmp_lt_u64_e32 vcc, s[2:3], v[4:5]
	v_mov_b64_e32 v[6:7], s[2:3]
	s_cbranch_vccnz .LBB0_4
; %bb.3:
	v_rcp_iflag_f32_e32 v1, v1
	s_sub_i32 s3, 0, s20
	v_mul_f32_e32 v1, 0x4f7ffffe, v1
	v_cvt_u32_f32_e32 v1, v1
	v_mul_lo_u32 v3, s3, v1
	v_mul_hi_u32 v3, v1, v3
	v_add_u32_e32 v1, v1, v3
	v_mul_hi_u32 v1, s2, v1
	v_mul_lo_u32 v1, v1, s20
	v_sub_u32_e32 v1, s2, v1
	v_subrev_u32_e32 v3, s20, v1
	v_cmp_le_u32_e32 vcc, s20, v1
	s_nop 1
	v_cndmask_b32_e32 v1, v1, v3, vcc
	v_subrev_u32_e32 v3, s20, v1
	v_cmp_le_u32_e32 vcc, s20, v1
	s_nop 1
	v_cndmask_b32_e32 v6, v1, v3, vcc
.LBB0_4:
	s_load_dwordx2 s[0:1], s[0:1], 0x8
	v_mul_lo_u32 v5, v6, s14
	s_movk_i32 s2, 0x78
	v_mul_u32_u24_e32 v1, 0xf10, v0
	v_mul_lo_u32 v4, v2, s2
	s_waitcnt lgkmcnt(0)
	s_lshl_b64 s[0:1], s[0:1], 3
	s_add_u32 s14, s18, s0
	s_addc_u32 s15, s19, s1
	s_load_dwordx2 s[14:15], s[14:15], 0x0
	v_lshrrev_b32_e32 v1, 16, v1
	v_mul_lo_u32 v2, v4, s22
	v_add_u32_e32 v2, v5, v2
	v_mul_lo_u16_e32 v5, 17, v1
	s_waitcnt lgkmcnt(0)
	s_mul_i32 s15, s15, s7
	s_mul_hi_u32 s17, s14, s7
	s_add_i32 s15, s17, s15
	s_add_u32 s0, s24, s0
	s_addc_u32 s1, s25, s1
	s_load_dwordx2 s[0:1], s[0:1], 0x0
	v_sub_u16_e32 v7, v0, v5
	v_mad_u64_u32 v[10:11], s[18:19], s12, v7, 0
	v_mov_b32_e32 v8, v11
	v_mov_b32_e32 v3, 0
	s_mul_i32 s14, s14, s7
	s_waitcnt lgkmcnt(0)
	s_mul_i32 s1, s1, s7
	s_mul_hi_u32 s17, s0, s7
	v_mad_u64_u32 v[8:9], s[18:19], s13, v7, v[8:9]
	s_add_i32 s1, s17, s1
	v_mov_b32_e32 v11, v8
	s_lshl_b64 s[14:15], s[14:15], 3
	v_lshlrev_b64 v[8:9], 3, v[2:3]
	v_add_u16_e32 v2, 0x78, v0
	s_add_u32 s8, s8, s14
	v_mul_u32_u24_e32 v5, 0xf10, v2
	s_addc_u32 s9, s9, s15
	v_lshrrev_b32_e32 v34, 16, v5
	v_lshl_add_u64 v[8:9], s[8:9], 0, v[8:9]
	v_mul_lo_u16_e32 v5, 17, v34
	v_mul_lo_u32 v12, s22, v1
	v_mov_b32_e32 v13, v3
	v_lshl_add_u64 v[10:11], v[10:11], 3, v[8:9]
	v_sub_u16_e32 v35, v2, v5
	v_lshl_add_u64 v[18:19], v[12:13], 3, v[10:11]
	v_mad_u64_u32 v[10:11], s[8:9], s12, v35, 0
	v_mov_b32_e32 v2, v11
	v_mad_u64_u32 v[12:13], s[8:9], s13, v35, v[2:3]
	v_mov_b32_e32 v11, v12
	v_mul_lo_u32 v2, s22, v34
	v_lshl_add_u64 v[10:11], v[10:11], 3, v[8:9]
	s_mov_b32 s8, 0x16800f0
	v_lshl_add_u64 v[20:21], v[2:3], 3, v[10:11]
	v_pk_add_u16 v2, v0, s8 op_sel_hi:[0,1]
	s_movk_i32 s3, 0xf10
	v_and_b32_e32 v5, 0x1ff, v2
	v_mul_u32_u24_e32 v5, 0xf10, v5
	v_mul_u32_u24_sdwa v10, v2, s3 dst_sel:DWORD dst_unused:UNUSED_PAD src0_sel:WORD_1 src1_sel:DWORD
	s_mov_b32 s8, 0x7060302
	v_perm_b32 v36, v10, v5, s8
	v_lshrrev_b32_e32 v14, 16, v5
	v_pk_mul_lo_u16 v5, v36, 17 op_sel_hi:[1,0]
	v_lshrrev_b32_e32 v15, 16, v10
	v_pk_sub_i16 v37, v2, v5
	s_mov_b32 s9, 0x25801e0
	v_and_b32_e32 v5, 0xffff, v37
	v_mad_u64_u32 v[10:11], s[14:15], s12, v5, 0
	v_mov_b32_e32 v2, v11
	v_mad_u64_u32 v[12:13], s[14:15], s13, v5, v[2:3]
	v_mov_b32_e32 v11, v12
	v_mul_lo_u32 v2, s22, v14
	v_lshl_add_u64 v[10:11], v[10:11], 3, v[8:9]
	v_lshrrev_b32_e32 v5, 16, v37
	v_lshl_add_u64 v[22:23], v[2:3], 3, v[10:11]
	v_mad_u64_u32 v[10:11], s[14:15], s12, v5, 0
	v_mov_b32_e32 v2, v11
	v_mad_u64_u32 v[12:13], s[14:15], s13, v5, v[2:3]
	v_mov_b32_e32 v11, v12
	v_mul_lo_u32 v2, s22, v15
	v_lshl_add_u64 v[10:11], v[10:11], 3, v[8:9]
	v_lshl_add_u64 v[24:25], v[2:3], 3, v[10:11]
	v_pk_add_u16 v2, v0, s9 op_sel_hi:[0,1]
	v_and_b32_e32 v5, 0x3ff, v2
	global_load_dwordx2 v[16:17], v[18:19], off
	global_load_dwordx2 v[14:15], v[20:21], off
	;; [unrolled: 1-line block ×4, first 2 shown]
	v_mul_u32_u24_e32 v5, 0xf10, v5
	v_mul_u32_u24_sdwa v18, v2, s3 dst_sel:DWORD dst_unused:UNUSED_PAD src0_sel:WORD_1 src1_sel:DWORD
	v_perm_b32 v54, v18, v5, s8
	v_lshrrev_b32_e32 v22, 16, v5
	v_pk_mul_lo_u16 v5, v54, 17 op_sel_hi:[1,0]
	v_lshrrev_b32_e32 v23, 16, v18
	v_pk_sub_i16 v55, v2, v5
	s_mov_b32 s9, 0x34802d0
	v_and_b32_e32 v5, 0xffff, v55
	v_mad_u64_u32 v[18:19], s[14:15], s12, v5, 0
	v_mov_b32_e32 v2, v19
	v_mad_u64_u32 v[20:21], s[14:15], s13, v5, v[2:3]
	v_mov_b32_e32 v19, v20
	v_mul_lo_u32 v2, s22, v22
	v_lshl_add_u64 v[18:19], v[18:19], 3, v[8:9]
	v_lshrrev_b32_e32 v5, 16, v55
	v_lshl_add_u64 v[26:27], v[2:3], 3, v[18:19]
	v_mad_u64_u32 v[18:19], s[14:15], s12, v5, 0
	v_mov_b32_e32 v2, v19
	v_mad_u64_u32 v[20:21], s[14:15], s13, v5, v[2:3]
	v_mov_b32_e32 v19, v20
	v_mul_lo_u32 v2, s22, v23
	v_lshl_add_u64 v[18:19], v[18:19], 3, v[8:9]
	v_lshl_add_u64 v[28:29], v[2:3], 3, v[18:19]
	v_pk_add_u16 v2, v0, s9 op_sel_hi:[0,1]
	v_and_b32_e32 v5, 0x3ff, v2
	v_mul_u32_u24_e32 v5, 0xf10, v5
	v_mul_u32_u24_sdwa v18, v2, s3 dst_sel:DWORD dst_unused:UNUSED_PAD src0_sel:WORD_1 src1_sel:DWORD
	v_perm_b32 v56, v18, v5, s8
	v_lshrrev_b32_e32 v22, 16, v5
	v_pk_mul_lo_u16 v5, v56, 17 op_sel_hi:[1,0]
	v_lshrrev_b32_e32 v23, 16, v18
	v_pk_sub_i16 v57, v2, v5
	s_mov_b32 s9, 0x43803c0
	v_and_b32_e32 v5, 0xffff, v57
	v_mad_u64_u32 v[18:19], s[14:15], s12, v5, 0
	v_mov_b32_e32 v2, v19
	v_mad_u64_u32 v[20:21], s[14:15], s13, v5, v[2:3]
	v_mov_b32_e32 v19, v20
	v_mul_lo_u32 v2, s22, v22
	v_lshl_add_u64 v[18:19], v[18:19], 3, v[8:9]
	v_lshrrev_b32_e32 v5, 16, v57
	v_lshl_add_u64 v[30:31], v[2:3], 3, v[18:19]
	v_mad_u64_u32 v[18:19], s[14:15], s12, v5, 0
	v_mov_b32_e32 v2, v19
	v_mad_u64_u32 v[20:21], s[14:15], s13, v5, v[2:3]
	v_mov_b32_e32 v19, v20
	v_mul_lo_u32 v2, s22, v23
	v_lshl_add_u64 v[18:19], v[18:19], 3, v[8:9]
	v_lshl_add_u64 v[32:33], v[2:3], 3, v[18:19]
	v_pk_add_u16 v2, v0, s9 op_sel_hi:[0,1]
	v_and_b32_e32 v5, 0x7ff, v2
	global_load_dwordx2 v[24:25], v[26:27], off
	global_load_dwordx2 v[22:23], v[28:29], off
	;; [unrolled: 1-line block ×4, first 2 shown]
	v_mul_u32_u24_e32 v5, 0xf10, v5
	v_mul_u32_u24_sdwa v26, v2, s3 dst_sel:DWORD dst_unused:UNUSED_PAD src0_sel:WORD_1 src1_sel:DWORD
	v_perm_b32 v58, v26, v5, s8
	v_lshrrev_b32_e32 v30, 16, v5
	v_pk_mul_lo_u16 v5, v58, 17 op_sel_hi:[1,0]
	v_lshrrev_b32_e32 v31, 16, v26
	v_pk_sub_i16 v59, v2, v5
	s_mov_b32 s9, 0x52804b0
	v_and_b32_e32 v5, 0xffff, v59
	v_mad_u64_u32 v[26:27], s[14:15], s12, v5, 0
	v_mov_b32_e32 v2, v27
	v_mad_u64_u32 v[28:29], s[14:15], s13, v5, v[2:3]
	v_mov_b32_e32 v27, v28
	v_mul_lo_u32 v2, s22, v30
	v_lshl_add_u64 v[26:27], v[26:27], 3, v[8:9]
	v_lshrrev_b32_e32 v5, 16, v59
	v_lshl_add_u64 v[38:39], v[2:3], 3, v[26:27]
	v_mad_u64_u32 v[26:27], s[14:15], s12, v5, 0
	v_mov_b32_e32 v2, v27
	v_mad_u64_u32 v[28:29], s[14:15], s13, v5, v[2:3]
	v_mov_b32_e32 v27, v28
	v_mul_lo_u32 v2, s22, v31
	v_lshl_add_u64 v[26:27], v[26:27], 3, v[8:9]
	v_lshl_add_u64 v[40:41], v[2:3], 3, v[26:27]
	v_pk_add_u16 v2, v0, s9 op_sel_hi:[0,1]
	v_and_b32_e32 v5, 0x5ff, v2
	v_mul_u32_u24_e32 v5, 0xf10, v5
	v_mul_u32_u24_sdwa v26, v2, s3 dst_sel:DWORD dst_unused:UNUSED_PAD src0_sel:WORD_1 src1_sel:DWORD
	v_perm_b32 v60, v26, v5, s8
	v_lshrrev_b32_e32 v30, 16, v5
	v_pk_mul_lo_u16 v5, v60, 17 op_sel_hi:[1,0]
	v_lshrrev_b32_e32 v31, 16, v26
	v_pk_sub_i16 v61, v2, v5
	s_mov_b32 s9, 0x61805a0
	v_and_b32_e32 v5, 0xffff, v61
	v_mad_u64_u32 v[26:27], s[14:15], s12, v5, 0
	v_mov_b32_e32 v2, v27
	v_mad_u64_u32 v[28:29], s[14:15], s13, v5, v[2:3]
	v_mov_b32_e32 v27, v28
	v_mul_lo_u32 v2, s22, v30
	v_lshl_add_u64 v[26:27], v[26:27], 3, v[8:9]
	v_lshrrev_b32_e32 v5, 16, v61
	v_lshl_add_u64 v[42:43], v[2:3], 3, v[26:27]
	v_mad_u64_u32 v[26:27], s[14:15], s12, v5, 0
	v_mov_b32_e32 v2, v27
	v_mad_u64_u32 v[28:29], s[14:15], s13, v5, v[2:3]
	v_mov_b32_e32 v27, v28
	v_mul_lo_u32 v2, s22, v31
	v_lshl_add_u64 v[26:27], v[26:27], 3, v[8:9]
	v_lshl_add_u64 v[44:45], v[2:3], 3, v[26:27]
	v_pk_add_u16 v2, v0, s9 op_sel_hi:[0,1]
	v_and_b32_e32 v5, 0x7ff, v2
	global_load_dwordx2 v[32:33], v[38:39], off
	global_load_dwordx2 v[30:31], v[40:41], off
	;; [unrolled: 1-line block ×4, first 2 shown]
	v_mul_u32_u24_e32 v5, 0xf10, v5
	v_mul_u32_u24_sdwa v38, v2, s3 dst_sel:DWORD dst_unused:UNUSED_PAD src0_sel:WORD_1 src1_sel:DWORD
	v_perm_b32 v62, v38, v5, s8
	v_lshrrev_b32_e32 v42, 16, v5
	v_pk_mul_lo_u16 v5, v62, 17 op_sel_hi:[1,0]
	v_lshrrev_b32_e32 v44, 16, v38
	v_pk_sub_i16 v63, v2, v5
	s_mov_b32 s9, 0x7080690
	v_and_b32_e32 v5, 0xffff, v63
	v_mad_u64_u32 v[38:39], s[14:15], s12, v5, 0
	v_mov_b32_e32 v2, v39
	v_mad_u64_u32 v[40:41], s[14:15], s13, v5, v[2:3]
	v_mov_b32_e32 v39, v40
	v_lshrrev_b32_e32 v5, 16, v63
	v_mul_lo_u32 v2, s22, v42
	v_lshl_add_u64 v[38:39], v[38:39], 3, v[8:9]
	v_mad_u64_u32 v[40:41], s[14:15], s12, v5, 0
	v_lshl_add_u64 v[38:39], v[2:3], 3, v[38:39]
	v_mov_b32_e32 v2, v41
	v_mad_u64_u32 v[42:43], s[14:15], s13, v5, v[2:3]
	v_mov_b32_e32 v41, v42
	v_mul_lo_u32 v2, s22, v44
	v_lshl_add_u64 v[40:41], v[40:41], 3, v[8:9]
	v_lshl_add_u64 v[40:41], v[2:3], 3, v[40:41]
	v_pk_add_u16 v2, v0, s9 op_sel_hi:[0,1]
	v_and_b32_e32 v5, 0x7ff, v2
	v_mul_u32_u24_e32 v5, 0xf10, v5
	v_mul_u32_u24_sdwa v42, v2, s3 dst_sel:DWORD dst_unused:UNUSED_PAD src0_sel:WORD_1 src1_sel:DWORD
	v_perm_b32 v64, v42, v5, s8
	v_lshrrev_b32_e32 v46, 16, v5
	v_pk_mul_lo_u16 v5, v64, 17 op_sel_hi:[1,0]
	v_lshrrev_b32_e32 v48, 16, v42
	v_pk_sub_i16 v65, v2, v5
	s_mul_i32 s0, s0, s7
	v_and_b32_e32 v5, 0xffff, v65
	v_mad_u64_u32 v[42:43], s[8:9], s12, v5, 0
	v_mov_b32_e32 v2, v43
	v_mad_u64_u32 v[44:45], s[8:9], s13, v5, v[2:3]
	v_mov_b32_e32 v43, v44
	v_lshrrev_b32_e32 v5, 16, v65
	v_mul_lo_u32 v2, s22, v46
	v_lshl_add_u64 v[42:43], v[42:43], 3, v[8:9]
	v_mad_u64_u32 v[44:45], s[8:9], s12, v5, 0
	v_lshl_add_u64 v[42:43], v[2:3], 3, v[42:43]
	v_mov_b32_e32 v2, v45
	v_mad_u64_u32 v[46:47], s[8:9], s13, v5, v[2:3]
	v_mov_b32_e32 v45, v46
	v_mul_lo_u32 v2, s22, v48
	v_lshl_add_u64 v[44:45], v[44:45], 3, v[8:9]
	v_lshl_add_u64 v[44:45], v[2:3], 3, v[44:45]
	v_or_b32_e32 v2, 0x780, v0
	v_mul_u32_u24_sdwa v5, v2, s3 dst_sel:DWORD dst_unused:UNUSED_PAD src0_sel:WORD_0 src1_sel:DWORD
	global_load_dwordx2 v[46:47], v[38:39], off
	global_load_dwordx2 v[48:49], v[40:41], off
	global_load_dwordx2 v[50:51], v[42:43], off
	global_load_dwordx2 v[52:53], v[44:45], off
	v_lshrrev_b32_e32 v42, 16, v5
	v_mul_lo_u16_e32 v5, 17, v42
	v_sub_u16_e32 v43, v2, v5
	v_mad_u64_u32 v[38:39], s[8:9], s12, v43, 0
	v_mov_b32_e32 v2, v39
	v_mad_u64_u32 v[40:41], s[8:9], s13, v43, v[2:3]
	v_mov_b32_e32 v39, v40
	v_mul_lo_u32 v2, s22, v42
	v_lshl_add_u64 v[8:9], v[38:39], 3, v[8:9]
	v_lshl_add_u64 v[8:9], v[2:3], 3, v[8:9]
	global_load_dwordx2 v[8:9], v[8:9], off
	v_mul_u32_u24_e32 v2, 0x223, v0
	v_mul_lo_u32 v38, v6, s16
	v_mul_lo_u16_sdwa v6, v2, s2 dst_sel:DWORD dst_unused:UNUSED_PAD src0_sel:WORD_1 src1_sel:DWORD
	v_sub_u16_e32 v0, v0, v6
	v_mul_lo_u16_e32 v6, 0x78, v7
	v_or_b32_e32 v1, v6, v1
	v_and_b32_e32 v1, 0xffff, v1
	v_lshl_add_u32 v1, v1, 3, 0
	s_waitcnt vmcnt(16)
	ds_write_b64 v1, v[16:17]
	v_mad_legacy_u16 v1, v35, s2, v34
	v_lshl_add_u32 v1, v1, 3, 0
	s_waitcnt vmcnt(15)
	ds_write_b64 v1, v[14:15]
	v_pk_mad_u16 v1, v37, s2, v36 op_sel_hi:[1,0,1]
	v_mov_b32_e32 v5, v3
	v_and_b32_e32 v6, 0xffff, v1
	v_bfe_u32 v1, v1, 16, 16
	v_lshl_add_u32 v6, v6, 3, 0
	v_lshl_add_u32 v1, v1, 3, 0
	s_waitcnt vmcnt(14)
	ds_write_b64 v6, v[10:11]
	s_waitcnt vmcnt(13)
	ds_write_b64 v1, v[12:13]
	v_pk_mad_u16 v1, v55, s2, v54 op_sel_hi:[1,0,1]
	s_lshl_b64 s[0:1], s[0:1], 3
	v_and_b32_e32 v6, 0xffff, v1
	v_bfe_u32 v1, v1, 16, 16
	v_lshl_add_u32 v6, v6, 3, 0
	v_lshl_add_u32 v1, v1, 3, 0
	s_waitcnt vmcnt(12)
	ds_write_b64 v6, v[24:25]
	s_waitcnt vmcnt(11)
	ds_write_b64 v1, v[22:23]
	v_pk_mad_u16 v1, v57, s2, v56 op_sel_hi:[1,0,1]
	v_mov_b32_e32 v39, v3
	v_and_b32_e32 v6, 0xffff, v1
	v_bfe_u32 v1, v1, 16, 16
	v_lshl_add_u32 v6, v6, 3, 0
	v_lshl_add_u32 v1, v1, 3, 0
	s_waitcnt vmcnt(10)
	ds_write_b64 v6, v[18:19]
	s_waitcnt vmcnt(9)
	ds_write_b64 v1, v[20:21]
	v_pk_mad_u16 v1, v59, s2, v58 op_sel_hi:[1,0,1]
	s_add_u32 s0, s10, s0
	v_and_b32_e32 v6, 0xffff, v1
	v_bfe_u32 v1, v1, 16, 16
	v_lshl_add_u32 v6, v6, 3, 0
	v_lshl_add_u32 v1, v1, 3, 0
	s_waitcnt vmcnt(8)
	ds_write_b64 v6, v[32:33]
	s_waitcnt vmcnt(7)
	ds_write_b64 v1, v[30:31]
	v_pk_mad_u16 v1, v61, s2, v60 op_sel_hi:[1,0,1]
	s_addc_u32 s1, s11, s1
	v_and_b32_e32 v6, 0xffff, v1
	v_bfe_u32 v1, v1, 16, 16
	v_lshl_add_u32 v6, v6, 3, 0
	v_lshl_add_u32 v1, v1, 3, 0
	s_waitcnt vmcnt(6)
	ds_write_b64 v6, v[26:27]
	s_waitcnt vmcnt(5)
	ds_write_b64 v1, v[28:29]
	v_pk_mad_u16 v1, v63, s2, v62 op_sel_hi:[1,0,1]
	s_mov_b32 s24, 0xbf2c7751
	v_and_b32_e32 v6, 0xffff, v1
	v_bfe_u32 v1, v1, 16, 16
	v_lshl_add_u32 v6, v6, 3, 0
	v_lshl_add_u32 v1, v1, 3, 0
	s_mov_b32 s36, 0xbf65296c
	s_mov_b32 s26, 0xbeb8f4ab
	;; [unrolled: 1-line block ×5, first 2 shown]
	s_waitcnt vmcnt(4)
	ds_write_b64 v6, v[46:47]
	s_waitcnt vmcnt(3)
	ds_write_b64 v1, v[48:49]
	v_pk_mad_u16 v1, v65, s2, v64 op_sel_hi:[1,0,1]
	s_mov_b32 s14, 0xbf4c4adb
	v_and_b32_e32 v6, 0xffff, v1
	v_bfe_u32 v1, v1, 16, 16
	v_lshl_add_u32 v6, v6, 3, 0
	v_lshl_add_u32 v1, v1, 3, 0
	s_waitcnt vmcnt(2)
	ds_write_b64 v6, v[50:51]
	s_waitcnt vmcnt(1)
	ds_write_b64 v1, v[52:53]
	v_mad_legacy_u16 v1, v43, s2, v42
	v_lshl_add_u32 v1, v1, 3, 0
	s_movk_i32 s2, 0x3c0
	v_lshlrev_b32_e32 v6, 3, v0
	s_mov_b32 s12, 0xbf1a4643
	s_mov_b32 s18, 0xbf06c442
	s_waitcnt vmcnt(0)
	ds_write_b64 v1, v[8:9]
	v_mul_u32_u24_sdwa v1, v2, s2 dst_sel:DWORD dst_unused:UNUSED_PAD src0_sel:WORD_1 src1_sel:DWORD
	v_add3_u32 v86, 0, v1, v6
	v_mov_b32_e32 v1, v3
	v_lshl_add_u64 v[0:1], v[4:5], 0, v[0:1]
	v_mul_lo_u32 v4, v1, s4
	v_mul_lo_u32 v5, v0, s5
	v_mad_u64_u32 v[0:1], s[2:3], v0, s4, 0
	v_add3_u32 v1, v1, v5, v4
	v_mov_b32_e32 v4, 17
	v_mul_u32_u24_sdwa v2, v2, v4 dst_sel:DWORD dst_unused:UNUSED_PAD src0_sel:WORD_1 src1_sel:DWORD
	v_lshlrev_b64 v[4:5], 3, v[38:39]
	v_lshl_add_u64 v[4:5], s[0:1], 0, v[4:5]
	v_mul_lo_u32 v2, v2, s6
	v_lshl_add_u64 v[0:1], v[0:1], 3, v[4:5]
	v_lshl_add_u64 v[68:69], v[2:3], 3, v[0:1]
	v_add_u32_e32 v2, s6, v2
	v_lshl_add_u64 v[40:41], v[2:3], 3, v[0:1]
	v_add_u32_e32 v2, s6, v2
	;; [unrolled: 2-line block ×15, first 2 shown]
	v_add_u32_e32 v24, 0x400, v86
	s_waitcnt lgkmcnt(0)
	s_barrier
	v_lshl_add_u64 v[18:19], v[2:3], 3, v[0:1]
	v_add_u32_e32 v2, s6, v2
	ds_read2_b64 v[28:31], v24 offset0:112 offset1:232
	v_add_u32_e32 v24, 0xc00, v86
	v_lshl_add_u64 v[20:21], v[2:3], 3, v[0:1]
	ds_read2_b64 v[0:3], v86 offset1:120
	ds_read2_b64 v[44:47], v24 offset0:96 offset1:216
	v_add_u32_e32 v24, 0x1400, v86
	ds_read2_b64 v[48:51], v24 offset0:80 offset1:200
	v_add_u32_e32 v24, 0x1c00, v86
	;; [unrolled: 2-line block ×5, first 2 shown]
	ds_read2_b64 v[74:77], v24 offset0:16 offset1:136
	s_waitcnt lgkmcnt(6)
	v_pk_add_f32 v[24:25], v[0:1], v[2:3]
	s_waitcnt lgkmcnt(2)
	v_pk_add_f32 v[38:39], v[52:53], v[50:51]
	v_pk_add_f32 v[24:25], v[24:25], v[28:29]
	;; [unrolled: 1-line block ×4, first 2 shown]
	s_waitcnt lgkmcnt(0)
	v_pk_add_f32 v[26:27], v[28:29], v[76:77] neg_lo:[0,1] neg_hi:[0,1]
	v_pk_add_f32 v[24:25], v[24:25], v[44:45]
	v_pk_add_f32 v[34:35], v[48:49], v[54:55] neg_lo:[0,1] neg_hi:[0,1]
	v_pk_add_f32 v[42:43], v[24:25], v[46:47]
	v_pk_add_f32 v[24:25], v[76:77], v[28:29]
	v_pk_add_f32 v[42:43], v[42:43], v[48:49]
	v_pk_add_f32 v[48:49], v[72:73], v[44:45]
	v_pk_add_f32 v[84:85], v[42:43], v[50:51]
	v_pk_add_f32 v[42:43], v[50:51], v[52:53] neg_lo:[0,1] neg_hi:[0,1]
	v_pk_add_f32 v[50:51], v[84:85], v[56:57]
	s_mov_b32 s0, 0x3f3d2fb0
	v_pk_add_f32 v[50:51], v[50:51], v[58:59]
	v_pk_mul_f32 v[28:29], v[26:27], s[24:25] op_sel_hi:[1,0]
	v_pk_add_f32 v[50:51], v[50:51], v[52:53]
	v_pk_add_f32 v[52:53], v[46:47], v[70:71] neg_lo:[0,1] neg_hi:[0,1]
	v_pk_add_f32 v[84:85], v[50:51], v[54:55]
	v_pk_add_f32 v[54:55], v[44:45], v[72:73] neg_lo:[0,1] neg_hi:[0,1]
	v_pk_add_f32 v[50:51], v[70:71], v[46:47]
	v_pk_add_f32 v[44:45], v[58:59], v[56:57]
	v_pk_add_f32 v[46:47], v[56:57], v[58:59] neg_lo:[0,1] neg_hi:[0,1]
	v_pk_add_f32 v[58:59], v[84:85], v[70:71]
	ds_read_b64 v[70:71], v86 offset:15360
	v_pk_fma_f32 v[78:79], v[24:25], s[0:1], v[28:29] op_sel:[0,0,1] op_sel_hi:[1,0,0]
	v_pk_fma_f32 v[80:81], v[24:25], s[0:1], v[28:29] op_sel:[0,0,1] op_sel_hi:[1,0,0] neg_lo:[0,0,1] neg_hi:[0,0,1]
	v_pk_add_f32 v[28:29], v[74:75], v[30:31]
	v_pk_add_f32 v[30:31], v[30:31], v[74:75] neg_lo:[0,1] neg_hi:[0,1]
	s_mov_b32 s2, 0x3ee437d1
	v_pk_mul_f32 v[56:57], v[30:31], s[36:37] op_sel_hi:[1,0]
	v_pk_add_f32 v[58:59], v[58:59], v[72:73]
	v_pk_fma_f32 v[72:73], v[28:29], s[2:3], v[56:57] op_sel:[0,0,1] op_sel_hi:[1,0,0]
	v_pk_fma_f32 v[84:85], v[28:29], s[2:3], v[56:57] op_sel:[0,0,1] op_sel_hi:[1,0,0] neg_lo:[0,0,1] neg_hi:[0,0,1]
	v_pk_add_f32 v[56:57], v[58:59], v[74:75]
	s_waitcnt lgkmcnt(0)
	v_pk_add_f32 v[58:59], v[2:3], v[70:71] neg_lo:[0,1] neg_hi:[0,1]
	v_pk_add_f32 v[56:57], v[56:57], v[76:77]
	s_mov_b32 s4, 0x3f6eb680
	v_pk_add_f32 v[74:75], v[56:57], v[70:71]
	v_pk_add_f32 v[56:57], v[70:71], v[2:3]
	v_pk_mul_f32 v[2:3], v[58:59], s[26:27] op_sel_hi:[1,0]
	global_store_dwordx2 v[68:69], v[74:75], off
	v_pk_fma_f32 v[68:69], v[56:57], s[4:5], v[2:3] op_sel:[0,0,1] op_sel_hi:[1,0,0]
	v_pk_fma_f32 v[70:71], v[56:57], s[4:5], v[2:3] op_sel:[0,0,1] op_sel_hi:[1,0,0] neg_lo:[0,0,1] neg_hi:[0,0,1]
	v_mov_b32_e32 v2, v68
	v_mov_b32_e32 v3, v71
	;; [unrolled: 1-line block ×4, first 2 shown]
	v_pk_add_f32 v[2:3], v[0:1], v[2:3]
	v_mov_b32_e32 v74, v72
	v_pk_add_f32 v[2:3], v[82:83], v[2:3]
	v_mov_b32_e32 v75, v85
	s_mov_b32 s6, 0x3dbcf732
	v_pk_add_f32 v[2:3], v[74:75], v[2:3]
	v_pk_mul_f32 v[74:75], v[54:55], s[30:31] op_sel_hi:[1,0]
	v_mov_b32_e32 v71, v69
	v_pk_fma_f32 v[76:77], v[48:49], s[6:7], v[74:75] op_sel:[0,0,1] op_sel_hi:[1,0,0]
	v_pk_fma_f32 v[74:75], v[48:49], s[6:7], v[74:75] op_sel:[0,0,1] op_sel_hi:[1,0,0] neg_lo:[0,0,1] neg_hi:[0,0,1]
	v_mov_b32_e32 v82, v76
	v_mov_b32_e32 v83, v75
	v_pk_add_f32 v[2:3], v[82:83], v[2:3]
	v_pk_mul_f32 v[82:83], v[52:53], s[10:11] op_sel_hi:[1,0]
	v_mov_b32_e32 v81, v79
	v_pk_fma_f32 v[86:87], v[50:51], s[8:9], v[82:83] op_sel:[0,0,1] op_sel_hi:[1,0,0]
	v_pk_fma_f32 v[82:83], v[50:51], s[8:9], v[82:83] op_sel:[0,0,1] op_sel_hi:[1,0,0] neg_lo:[0,0,1] neg_hi:[0,0,1]
	v_mov_b32_e32 v88, v86
	v_mov_b32_e32 v89, v83
	v_pk_add_f32 v[2:3], v[88:89], v[2:3]
	v_pk_mul_f32 v[88:89], v[34:35], s[14:15] op_sel_hi:[1,0]
	v_pk_add_f32 v[68:69], v[0:1], v[70:71]
	v_pk_fma_f32 v[90:91], v[32:33], s[12:13], v[88:89] op_sel:[0,0,1] op_sel_hi:[1,0,0]
	v_pk_fma_f32 v[88:89], v[32:33], s[12:13], v[88:89] op_sel:[0,0,1] op_sel_hi:[1,0,0] neg_lo:[0,0,1] neg_hi:[0,0,1]
	v_mov_b32_e32 v92, v90
	v_mov_b32_e32 v93, v89
	v_pk_add_f32 v[2:3], v[92:93], v[2:3]
	s_mov_b32 s16, 0xbf59a7d5
	v_pk_mul_f32 v[92:93], v[42:43], s[18:19] op_sel_hi:[1,0]
	v_pk_add_f32 v[68:69], v[80:81], v[68:69]
	v_mov_b32_e32 v85, v73
	v_pk_fma_f32 v[94:95], v[38:39], s[16:17], v[92:93] op_sel:[0,0,1] op_sel_hi:[1,0,0]
	v_pk_fma_f32 v[92:93], v[38:39], s[16:17], v[92:93] op_sel:[0,0,1] op_sel_hi:[1,0,0] neg_lo:[0,0,1] neg_hi:[0,0,1]
	v_pk_add_f32 v[68:69], v[84:85], v[68:69]
	v_mov_b32_e32 v75, v77
	v_mov_b32_e32 v96, v94
	;; [unrolled: 1-line block ×3, first 2 shown]
	s_mov_b32 s22, 0xbe3c28d5
	v_pk_add_f32 v[68:69], v[74:75], v[68:69]
	v_mov_b32_e32 v83, v87
	v_pk_add_f32 v[2:3], v[96:97], v[2:3]
	s_mov_b32 s20, 0xbf7ba420
	v_pk_mul_f32 v[96:97], v[46:47], s[22:23] op_sel_hi:[1,0]
	v_pk_add_f32 v[68:69], v[82:83], v[68:69]
	v_mov_b32_e32 v89, v91
	v_pk_fma_f32 v[98:99], v[44:45], s[20:21], v[96:97] op_sel:[0,0,1] op_sel_hi:[1,0,0]
	v_pk_fma_f32 v[96:97], v[44:45], s[20:21], v[96:97] op_sel:[0,0,1] op_sel_hi:[1,0,0] neg_lo:[0,0,1] neg_hi:[0,0,1]
	v_pk_add_f32 v[68:69], v[88:89], v[68:69]
	v_mov_b32_e32 v93, v95
	v_mov_b32_e32 v101, v97
	v_pk_add_f32 v[68:69], v[92:93], v[68:69]
	v_mov_b32_e32 v97, v99
	v_pk_add_f32 v[68:69], v[96:97], v[68:69]
	global_store_dwordx2 v[40:41], v[68:69], off
	v_pk_mul_f32 v[40:41], v[58:59], s[24:25] op_sel_hi:[1,0]
	v_pk_mul_f32 v[72:73], v[26:27], s[30:31] op_sel_hi:[1,0]
	v_pk_fma_f32 v[68:69], v[56:57], s[0:1], v[40:41] op_sel:[0,0,1] op_sel_hi:[1,0,0]
	v_pk_fma_f32 v[70:71], v[56:57], s[0:1], v[40:41] op_sel:[0,0,1] op_sel_hi:[1,0,0] neg_lo:[0,0,1] neg_hi:[0,0,1]
	v_mov_b32_e32 v40, v68
	v_mov_b32_e32 v41, v71
	v_pk_fma_f32 v[74:75], v[24:25], s[6:7], v[72:73] op_sel:[0,0,1] op_sel_hi:[1,0,0]
	v_pk_fma_f32 v[72:73], v[24:25], s[6:7], v[72:73] op_sel:[0,0,1] op_sel_hi:[1,0,0] neg_lo:[0,0,1] neg_hi:[0,0,1]
	v_pk_add_f32 v[40:41], v[0:1], v[40:41]
	v_mov_b32_e32 v76, v74
	v_mov_b32_e32 v77, v73
	v_pk_add_f32 v[40:41], v[76:77], v[40:41]
	v_pk_mul_f32 v[76:77], v[30:31], s[14:15] op_sel_hi:[1,0]
	s_mov_b32 s42, 0x3f06c442
	v_pk_fma_f32 v[78:79], v[28:29], s[12:13], v[76:77] op_sel:[0,0,1] op_sel_hi:[1,0,0]
	v_pk_fma_f32 v[76:77], v[28:29], s[12:13], v[76:77] op_sel:[0,0,1] op_sel_hi:[1,0,0] neg_lo:[0,0,1] neg_hi:[0,0,1]
	v_mov_b32_e32 v80, v78
	v_mov_b32_e32 v81, v77
	v_pk_add_f32 v[40:41], v[80:81], v[40:41]
	v_pk_mul_f32 v[80:81], v[54:55], s[22:23] op_sel_hi:[1,0]
	s_mov_b32 s40, 0x3f763a35
	v_pk_fma_f32 v[82:83], v[48:49], s[20:21], v[80:81] op_sel:[0,0,1] op_sel_hi:[1,0,0]
	v_pk_fma_f32 v[80:81], v[48:49], s[20:21], v[80:81] op_sel:[0,0,1] op_sel_hi:[1,0,0] neg_lo:[0,0,1] neg_hi:[0,0,1]
	v_mov_b32_e32 v84, v82
	v_mov_b32_e32 v85, v81
	v_pk_add_f32 v[40:41], v[84:85], v[40:41]
	v_pk_mul_f32 v[84:85], v[52:53], s[42:43] op_sel_hi:[1,0]
	v_mov_b32_e32 v71, v69
	v_pk_fma_f32 v[86:87], v[50:51], s[16:17], v[84:85] op_sel:[0,0,1] op_sel_hi:[1,0,0]
	v_pk_fma_f32 v[84:85], v[50:51], s[16:17], v[84:85] op_sel:[0,0,1] op_sel_hi:[1,0,0] neg_lo:[0,0,1] neg_hi:[0,0,1]
	v_mov_b32_e32 v88, v86
	v_mov_b32_e32 v89, v85
	v_pk_add_f32 v[40:41], v[88:89], v[40:41]
	v_pk_mul_f32 v[88:89], v[34:35], s[40:41] op_sel_hi:[1,0]
	s_mov_b32 s28, 0x3f65296c
	v_pk_fma_f32 v[90:91], v[32:33], s[8:9], v[88:89] op_sel:[0,0,1] op_sel_hi:[1,0,0]
	v_pk_fma_f32 v[88:89], v[32:33], s[8:9], v[88:89] op_sel:[0,0,1] op_sel_hi:[1,0,0] neg_lo:[0,0,1] neg_hi:[0,0,1]
	v_mov_b32_e32 v92, v90
	v_mov_b32_e32 v93, v89
	;; [unrolled: 1-line block ×3, first 2 shown]
	v_pk_add_f32 v[68:69], v[0:1], v[70:71]
	v_pk_add_f32 v[40:41], v[92:93], v[40:41]
	v_pk_mul_f32 v[92:93], v[42:43], s[28:29] op_sel_hi:[1,0]
	v_pk_add_f32 v[68:69], v[72:73], v[68:69]
	v_mov_b32_e32 v77, v79
	v_pk_fma_f32 v[94:95], v[38:39], s[2:3], v[92:93] op_sel:[0,0,1] op_sel_hi:[1,0,0]
	v_pk_fma_f32 v[92:93], v[38:39], s[2:3], v[92:93] op_sel:[0,0,1] op_sel_hi:[1,0,0] neg_lo:[0,0,1] neg_hi:[0,0,1]
	v_pk_add_f32 v[68:69], v[76:77], v[68:69]
	v_mov_b32_e32 v81, v83
	v_mov_b32_e32 v96, v94
	;; [unrolled: 1-line block ×3, first 2 shown]
	s_mov_b32 s34, 0x3eb8f4ab
	v_pk_add_f32 v[68:69], v[80:81], v[68:69]
	v_mov_b32_e32 v85, v87
	v_pk_add_f32 v[40:41], v[96:97], v[40:41]
	v_pk_mul_f32 v[96:97], v[46:47], s[34:35] op_sel_hi:[1,0]
	v_pk_add_f32 v[68:69], v[84:85], v[68:69]
	v_mov_b32_e32 v89, v91
	v_mov_b32_e32 v100, v98
	v_pk_fma_f32 v[98:99], v[44:45], s[4:5], v[96:97] op_sel:[0,0,1] op_sel_hi:[1,0,0]
	v_pk_fma_f32 v[96:97], v[44:45], s[4:5], v[96:97] op_sel:[0,0,1] op_sel_hi:[1,0,0] neg_lo:[0,0,1] neg_hi:[0,0,1]
	v_pk_add_f32 v[68:69], v[88:89], v[68:69]
	v_mov_b32_e32 v93, v95
	v_pk_add_f32 v[2:3], v[100:101], v[2:3]
	v_mov_b32_e32 v101, v97
	;; [unrolled: 2-line block ×3, first 2 shown]
	v_pk_add_f32 v[68:69], v[96:97], v[68:69]
	global_store_dwordx2 v[62:63], v[68:69], off
	v_pk_mul_f32 v[62:63], v[58:59], s[36:37] op_sel_hi:[1,0]
	v_pk_mul_f32 v[72:73], v[26:27], s[14:15] op_sel_hi:[1,0]
	v_pk_fma_f32 v[68:69], v[56:57], s[2:3], v[62:63] op_sel:[0,0,1] op_sel_hi:[1,0,0]
	v_pk_fma_f32 v[70:71], v[56:57], s[2:3], v[62:63] op_sel:[0,0,1] op_sel_hi:[1,0,0] neg_lo:[0,0,1] neg_hi:[0,0,1]
	v_mov_b32_e32 v62, v68
	v_mov_b32_e32 v63, v71
	v_pk_fma_f32 v[74:75], v[24:25], s[12:13], v[72:73] op_sel:[0,0,1] op_sel_hi:[1,0,0]
	v_pk_fma_f32 v[72:73], v[24:25], s[12:13], v[72:73] op_sel:[0,0,1] op_sel_hi:[1,0,0] neg_lo:[0,0,1] neg_hi:[0,0,1]
	v_pk_add_f32 v[62:63], v[0:1], v[62:63]
	v_mov_b32_e32 v76, v74
	v_mov_b32_e32 v77, v73
	s_mov_b32 s38, 0x3e3c28d5
	v_pk_add_f32 v[62:63], v[76:77], v[62:63]
	v_pk_mul_f32 v[76:77], v[30:31], s[38:39] op_sel_hi:[1,0]
	s_mov_b32 s38, 0x3f2c7751
	v_pk_fma_f32 v[78:79], v[28:29], s[20:21], v[76:77] op_sel:[0,0,1] op_sel_hi:[1,0,0]
	v_pk_fma_f32 v[76:77], v[28:29], s[20:21], v[76:77] op_sel:[0,0,1] op_sel_hi:[1,0,0] neg_lo:[0,0,1] neg_hi:[0,0,1]
	v_mov_b32_e32 v80, v78
	v_mov_b32_e32 v81, v77
	v_pk_add_f32 v[62:63], v[80:81], v[62:63]
	v_pk_mul_f32 v[80:81], v[54:55], s[40:41] op_sel_hi:[1,0]
	v_mov_b32_e32 v71, v69
	v_pk_fma_f32 v[82:83], v[48:49], s[8:9], v[80:81] op_sel:[0,0,1] op_sel_hi:[1,0,0]
	v_pk_fma_f32 v[80:81], v[48:49], s[8:9], v[80:81] op_sel:[0,0,1] op_sel_hi:[1,0,0] neg_lo:[0,0,1] neg_hi:[0,0,1]
	v_mov_b32_e32 v84, v82
	v_mov_b32_e32 v85, v81
	v_pk_add_f32 v[62:63], v[84:85], v[62:63]
	v_pk_mul_f32 v[84:85], v[52:53], s[38:39] op_sel_hi:[1,0]
	v_mov_b32_e32 v73, v75
	v_pk_fma_f32 v[86:87], v[50:51], s[0:1], v[84:85] op_sel:[0,0,1] op_sel_hi:[1,0,0]
	v_pk_fma_f32 v[84:85], v[50:51], s[0:1], v[84:85] op_sel:[0,0,1] op_sel_hi:[1,0,0] neg_lo:[0,0,1] neg_hi:[0,0,1]
	v_mov_b32_e32 v88, v86
	v_mov_b32_e32 v89, v85
	v_pk_add_f32 v[62:63], v[88:89], v[62:63]
	v_pk_mul_f32 v[88:89], v[34:35], s[26:27] op_sel_hi:[1,0]
	v_pk_add_f32 v[68:69], v[0:1], v[70:71]
	v_pk_fma_f32 v[90:91], v[32:33], s[4:5], v[88:89] op_sel:[0,0,1] op_sel_hi:[1,0,0]
	v_pk_fma_f32 v[88:89], v[32:33], s[4:5], v[88:89] op_sel:[0,0,1] op_sel_hi:[1,0,0] neg_lo:[0,0,1] neg_hi:[0,0,1]
	v_mov_b32_e32 v92, v90
	v_mov_b32_e32 v93, v89
	v_pk_add_f32 v[62:63], v[92:93], v[62:63]
	v_pk_mul_f32 v[92:93], v[42:43], s[30:31] op_sel_hi:[1,0]
	v_pk_add_f32 v[68:69], v[72:73], v[68:69]
	v_mov_b32_e32 v77, v79
	v_pk_fma_f32 v[94:95], v[38:39], s[6:7], v[92:93] op_sel:[0,0,1] op_sel_hi:[1,0,0]
	v_pk_fma_f32 v[92:93], v[38:39], s[6:7], v[92:93] op_sel:[0,0,1] op_sel_hi:[1,0,0] neg_lo:[0,0,1] neg_hi:[0,0,1]
	v_pk_add_f32 v[68:69], v[76:77], v[68:69]
	v_mov_b32_e32 v81, v83
	v_mov_b32_e32 v96, v94
	;; [unrolled: 1-line block ×3, first 2 shown]
	v_pk_add_f32 v[68:69], v[80:81], v[68:69]
	v_mov_b32_e32 v85, v87
	v_pk_add_f32 v[62:63], v[96:97], v[62:63]
	v_pk_mul_f32 v[96:97], v[46:47], s[18:19] op_sel_hi:[1,0]
	v_pk_add_f32 v[68:69], v[84:85], v[68:69]
	v_mov_b32_e32 v89, v91
	v_mov_b32_e32 v100, v98
	v_pk_fma_f32 v[98:99], v[44:45], s[16:17], v[96:97] op_sel:[0,0,1] op_sel_hi:[1,0,0]
	v_pk_fma_f32 v[96:97], v[44:45], s[16:17], v[96:97] op_sel:[0,0,1] op_sel_hi:[1,0,0] neg_lo:[0,0,1] neg_hi:[0,0,1]
	v_pk_add_f32 v[68:69], v[88:89], v[68:69]
	v_mov_b32_e32 v93, v95
	v_pk_add_f32 v[40:41], v[100:101], v[40:41]
	v_mov_b32_e32 v101, v97
	;; [unrolled: 2-line block ×3, first 2 shown]
	v_pk_add_f32 v[68:69], v[96:97], v[68:69]
	global_store_dwordx2 v[66:67], v[68:69], off
	v_pk_mul_f32 v[66:67], v[58:59], s[30:31] op_sel_hi:[1,0]
	v_pk_mul_f32 v[72:73], v[26:27], s[22:23] op_sel_hi:[1,0]
	v_pk_fma_f32 v[68:69], v[56:57], s[6:7], v[66:67] op_sel:[0,0,1] op_sel_hi:[1,0,0]
	v_pk_fma_f32 v[70:71], v[56:57], s[6:7], v[66:67] op_sel:[0,0,1] op_sel_hi:[1,0,0] neg_lo:[0,0,1] neg_hi:[0,0,1]
	v_mov_b32_e32 v66, v68
	v_mov_b32_e32 v67, v71
	v_pk_fma_f32 v[74:75], v[24:25], s[20:21], v[72:73] op_sel:[0,0,1] op_sel_hi:[1,0,0]
	v_pk_fma_f32 v[72:73], v[24:25], s[20:21], v[72:73] op_sel:[0,0,1] op_sel_hi:[1,0,0] neg_lo:[0,0,1] neg_hi:[0,0,1]
	v_pk_add_f32 v[66:67], v[0:1], v[66:67]
	v_mov_b32_e32 v76, v74
	v_mov_b32_e32 v77, v73
	v_pk_add_f32 v[66:67], v[76:77], v[66:67]
	v_pk_mul_f32 v[76:77], v[30:31], s[40:41] op_sel_hi:[1,0]
	v_mov_b32_e32 v71, v69
	v_pk_fma_f32 v[78:79], v[28:29], s[8:9], v[76:77] op_sel:[0,0,1] op_sel_hi:[1,0,0]
	v_pk_fma_f32 v[76:77], v[28:29], s[8:9], v[76:77] op_sel:[0,0,1] op_sel_hi:[1,0,0] neg_lo:[0,0,1] neg_hi:[0,0,1]
	v_mov_b32_e32 v80, v78
	v_mov_b32_e32 v81, v77
	v_pk_add_f32 v[66:67], v[80:81], v[66:67]
	v_pk_mul_f32 v[80:81], v[54:55], s[34:35] op_sel_hi:[1,0]
	s_mov_b32 s44, 0x3f4c4adb
	v_pk_fma_f32 v[82:83], v[48:49], s[4:5], v[80:81] op_sel:[0,0,1] op_sel_hi:[1,0,0]
	v_pk_fma_f32 v[80:81], v[48:49], s[4:5], v[80:81] op_sel:[0,0,1] op_sel_hi:[1,0,0] neg_lo:[0,0,1] neg_hi:[0,0,1]
	v_mov_b32_e32 v84, v82
	v_mov_b32_e32 v85, v81
	v_pk_add_f32 v[66:67], v[84:85], v[66:67]
	v_pk_mul_f32 v[84:85], v[52:53], s[36:37] op_sel_hi:[1,0]
	v_mov_b32_e32 v73, v75
	v_pk_fma_f32 v[86:87], v[50:51], s[2:3], v[84:85] op_sel:[0,0,1] op_sel_hi:[1,0,0]
	v_pk_fma_f32 v[84:85], v[50:51], s[2:3], v[84:85] op_sel:[0,0,1] op_sel_hi:[1,0,0] neg_lo:[0,0,1] neg_hi:[0,0,1]
	v_mov_b32_e32 v88, v86
	v_mov_b32_e32 v89, v85
	v_pk_add_f32 v[66:67], v[88:89], v[66:67]
	v_pk_mul_f32 v[88:89], v[34:35], s[18:19] op_sel_hi:[1,0]
	v_pk_add_f32 v[68:69], v[0:1], v[70:71]
	v_pk_fma_f32 v[90:91], v[32:33], s[16:17], v[88:89] op_sel:[0,0,1] op_sel_hi:[1,0,0]
	v_pk_fma_f32 v[88:89], v[32:33], s[16:17], v[88:89] op_sel:[0,0,1] op_sel_hi:[1,0,0] neg_lo:[0,0,1] neg_hi:[0,0,1]
	v_mov_b32_e32 v92, v90
	v_mov_b32_e32 v93, v89
	v_pk_add_f32 v[66:67], v[92:93], v[66:67]
	v_pk_mul_f32 v[92:93], v[42:43], s[44:45] op_sel_hi:[1,0]
	v_pk_add_f32 v[68:69], v[72:73], v[68:69]
	v_mov_b32_e32 v77, v79
	v_pk_fma_f32 v[94:95], v[38:39], s[12:13], v[92:93] op_sel:[0,0,1] op_sel_hi:[1,0,0]
	v_pk_fma_f32 v[92:93], v[38:39], s[12:13], v[92:93] op_sel:[0,0,1] op_sel_hi:[1,0,0] neg_lo:[0,0,1] neg_hi:[0,0,1]
	v_pk_add_f32 v[68:69], v[76:77], v[68:69]
	v_mov_b32_e32 v81, v83
	v_mov_b32_e32 v96, v94
	;; [unrolled: 1-line block ×3, first 2 shown]
	v_pk_add_f32 v[68:69], v[80:81], v[68:69]
	v_mov_b32_e32 v85, v87
	v_pk_add_f32 v[66:67], v[96:97], v[66:67]
	v_pk_mul_f32 v[96:97], v[46:47], s[38:39] op_sel_hi:[1,0]
	v_pk_add_f32 v[68:69], v[84:85], v[68:69]
	v_mov_b32_e32 v89, v91
	v_mov_b32_e32 v100, v98
	v_pk_fma_f32 v[98:99], v[44:45], s[0:1], v[96:97] op_sel:[0,0,1] op_sel_hi:[1,0,0]
	v_pk_fma_f32 v[96:97], v[44:45], s[0:1], v[96:97] op_sel:[0,0,1] op_sel_hi:[1,0,0] neg_lo:[0,0,1] neg_hi:[0,0,1]
	v_pk_add_f32 v[68:69], v[88:89], v[68:69]
	v_mov_b32_e32 v93, v95
	v_pk_add_f32 v[62:63], v[100:101], v[62:63]
	v_mov_b32_e32 v101, v97
	;; [unrolled: 2-line block ×3, first 2 shown]
	v_pk_add_f32 v[68:69], v[96:97], v[68:69]
	global_store_dwordx2 v[64:65], v[68:69], off
	v_pk_mul_f32 v[64:65], v[58:59], s[10:11] op_sel_hi:[1,0]
	v_pk_mul_f32 v[72:73], v[26:27], s[42:43] op_sel_hi:[1,0]
	v_pk_fma_f32 v[68:69], v[56:57], s[8:9], v[64:65] op_sel:[0,0,1] op_sel_hi:[1,0,0]
	v_pk_fma_f32 v[70:71], v[56:57], s[8:9], v[64:65] op_sel:[0,0,1] op_sel_hi:[1,0,0] neg_lo:[0,0,1] neg_hi:[0,0,1]
	v_mov_b32_e32 v64, v68
	v_mov_b32_e32 v65, v71
	v_pk_fma_f32 v[74:75], v[24:25], s[16:17], v[72:73] op_sel:[0,0,1] op_sel_hi:[1,0,0]
	v_pk_fma_f32 v[72:73], v[24:25], s[16:17], v[72:73] op_sel:[0,0,1] op_sel_hi:[1,0,0] neg_lo:[0,0,1] neg_hi:[0,0,1]
	v_pk_add_f32 v[64:65], v[0:1], v[64:65]
	v_mov_b32_e32 v76, v74
	v_mov_b32_e32 v77, v73
	v_pk_add_f32 v[64:65], v[76:77], v[64:65]
	v_pk_mul_f32 v[76:77], v[30:31], s[38:39] op_sel_hi:[1,0]
	v_mov_b32_e32 v71, v69
	v_pk_fma_f32 v[78:79], v[28:29], s[0:1], v[76:77] op_sel:[0,0,1] op_sel_hi:[1,0,0]
	v_pk_fma_f32 v[76:77], v[28:29], s[0:1], v[76:77] op_sel:[0,0,1] op_sel_hi:[1,0,0] neg_lo:[0,0,1] neg_hi:[0,0,1]
	v_mov_b32_e32 v80, v78
	v_mov_b32_e32 v81, v77
	v_pk_add_f32 v[64:65], v[80:81], v[64:65]
	v_pk_mul_f32 v[80:81], v[54:55], s[36:37] op_sel_hi:[1,0]
	s_mov_b32 s36, 0x3f7ee86f
	v_pk_fma_f32 v[82:83], v[48:49], s[2:3], v[80:81] op_sel:[0,0,1] op_sel_hi:[1,0,0]
	v_pk_fma_f32 v[80:81], v[48:49], s[2:3], v[80:81] op_sel:[0,0,1] op_sel_hi:[1,0,0] neg_lo:[0,0,1] neg_hi:[0,0,1]
	v_mov_b32_e32 v84, v82
	v_mov_b32_e32 v85, v81
	v_pk_add_f32 v[64:65], v[84:85], v[64:65]
	v_pk_mul_f32 v[84:85], v[52:53], s[22:23] op_sel_hi:[1,0]
	v_mov_b32_e32 v73, v75
	v_pk_fma_f32 v[86:87], v[50:51], s[20:21], v[84:85] op_sel:[0,0,1] op_sel_hi:[1,0,0]
	v_pk_fma_f32 v[84:85], v[50:51], s[20:21], v[84:85] op_sel:[0,0,1] op_sel_hi:[1,0,0] neg_lo:[0,0,1] neg_hi:[0,0,1]
	v_mov_b32_e32 v88, v86
	v_mov_b32_e32 v89, v85
	v_pk_add_f32 v[64:65], v[88:89], v[64:65]
	v_pk_mul_f32 v[88:89], v[34:35], s[36:37] op_sel_hi:[1,0]
	v_pk_add_f32 v[68:69], v[0:1], v[70:71]
	v_pk_fma_f32 v[90:91], v[32:33], s[6:7], v[88:89] op_sel:[0,0,1] op_sel_hi:[1,0,0]
	v_pk_fma_f32 v[88:89], v[32:33], s[6:7], v[88:89] op_sel:[0,0,1] op_sel_hi:[1,0,0] neg_lo:[0,0,1] neg_hi:[0,0,1]
	v_mov_b32_e32 v92, v90
	v_mov_b32_e32 v93, v89
	v_pk_add_f32 v[64:65], v[92:93], v[64:65]
	v_pk_mul_f32 v[92:93], v[42:43], s[26:27] op_sel_hi:[1,0]
	v_pk_add_f32 v[68:69], v[72:73], v[68:69]
	v_mov_b32_e32 v77, v79
	v_pk_fma_f32 v[94:95], v[38:39], s[4:5], v[92:93] op_sel:[0,0,1] op_sel_hi:[1,0,0]
	v_pk_fma_f32 v[92:93], v[38:39], s[4:5], v[92:93] op_sel:[0,0,1] op_sel_hi:[1,0,0] neg_lo:[0,0,1] neg_hi:[0,0,1]
	v_pk_add_f32 v[68:69], v[76:77], v[68:69]
	v_mov_b32_e32 v81, v83
	v_mov_b32_e32 v96, v94
	;; [unrolled: 1-line block ×3, first 2 shown]
	v_pk_add_f32 v[68:69], v[80:81], v[68:69]
	v_mov_b32_e32 v85, v87
	v_pk_add_f32 v[64:65], v[96:97], v[64:65]
	v_pk_mul_f32 v[96:97], v[46:47], s[14:15] op_sel_hi:[1,0]
	v_pk_add_f32 v[68:69], v[84:85], v[68:69]
	v_mov_b32_e32 v89, v91
	v_mov_b32_e32 v100, v98
	v_pk_fma_f32 v[98:99], v[44:45], s[12:13], v[96:97] op_sel:[0,0,1] op_sel_hi:[1,0,0]
	v_pk_fma_f32 v[96:97], v[44:45], s[12:13], v[96:97] op_sel:[0,0,1] op_sel_hi:[1,0,0] neg_lo:[0,0,1] neg_hi:[0,0,1]
	v_pk_add_f32 v[68:69], v[88:89], v[68:69]
	v_mov_b32_e32 v93, v95
	v_pk_add_f32 v[66:67], v[100:101], v[66:67]
	v_mov_b32_e32 v101, v97
	;; [unrolled: 2-line block ×3, first 2 shown]
	v_pk_add_f32 v[68:69], v[96:97], v[68:69]
	global_store_dwordx2 v[60:61], v[68:69], off
	v_pk_mul_f32 v[60:61], v[58:59], s[14:15] op_sel_hi:[1,0]
	v_pk_mul_f32 v[72:73], v[26:27], s[40:41] op_sel_hi:[1,0]
	v_pk_fma_f32 v[68:69], v[56:57], s[12:13], v[60:61] op_sel:[0,0,1] op_sel_hi:[1,0,0]
	v_pk_fma_f32 v[70:71], v[56:57], s[12:13], v[60:61] op_sel:[0,0,1] op_sel_hi:[1,0,0] neg_lo:[0,0,1] neg_hi:[0,0,1]
	v_mov_b32_e32 v60, v68
	v_mov_b32_e32 v61, v71
	v_pk_fma_f32 v[74:75], v[24:25], s[8:9], v[72:73] op_sel:[0,0,1] op_sel_hi:[1,0,0]
	v_pk_fma_f32 v[72:73], v[24:25], s[8:9], v[72:73] op_sel:[0,0,1] op_sel_hi:[1,0,0] neg_lo:[0,0,1] neg_hi:[0,0,1]
	v_pk_add_f32 v[60:61], v[0:1], v[60:61]
	v_mov_b32_e32 v76, v74
	v_mov_b32_e32 v77, v73
	v_pk_add_f32 v[60:61], v[76:77], v[60:61]
	v_pk_mul_f32 v[76:77], v[30:31], s[26:27] op_sel_hi:[1,0]
	v_mov_b32_e32 v71, v69
	v_pk_fma_f32 v[78:79], v[28:29], s[4:5], v[76:77] op_sel:[0,0,1] op_sel_hi:[1,0,0]
	v_pk_fma_f32 v[76:77], v[28:29], s[4:5], v[76:77] op_sel:[0,0,1] op_sel_hi:[1,0,0] neg_lo:[0,0,1] neg_hi:[0,0,1]
	v_mov_b32_e32 v80, v78
	v_mov_b32_e32 v81, v77
	v_pk_add_f32 v[60:61], v[80:81], v[60:61]
	v_pk_mul_f32 v[80:81], v[54:55], s[18:19] op_sel_hi:[1,0]
	v_mov_b32_e32 v73, v75
	v_pk_fma_f32 v[82:83], v[48:49], s[16:17], v[80:81] op_sel:[0,0,1] op_sel_hi:[1,0,0]
	v_pk_fma_f32 v[80:81], v[48:49], s[16:17], v[80:81] op_sel:[0,0,1] op_sel_hi:[1,0,0] neg_lo:[0,0,1] neg_hi:[0,0,1]
	v_mov_b32_e32 v84, v82
	v_mov_b32_e32 v85, v81
	v_pk_add_f32 v[60:61], v[84:85], v[60:61]
	v_pk_mul_f32 v[84:85], v[52:53], s[36:37] op_sel_hi:[1,0]
	v_pk_add_f32 v[68:69], v[0:1], v[70:71]
	v_pk_fma_f32 v[86:87], v[50:51], s[6:7], v[84:85] op_sel:[0,0,1] op_sel_hi:[1,0,0]
	v_pk_fma_f32 v[84:85], v[50:51], s[6:7], v[84:85] op_sel:[0,0,1] op_sel_hi:[1,0,0] neg_lo:[0,0,1] neg_hi:[0,0,1]
	v_mov_b32_e32 v88, v86
	v_mov_b32_e32 v89, v85
	v_pk_add_f32 v[60:61], v[88:89], v[60:61]
	v_pk_mul_f32 v[88:89], v[34:35], s[24:25] op_sel_hi:[1,0]
	v_pk_add_f32 v[68:69], v[72:73], v[68:69]
	v_pk_fma_f32 v[90:91], v[32:33], s[0:1], v[88:89] op_sel:[0,0,1] op_sel_hi:[1,0,0]
	v_pk_fma_f32 v[88:89], v[32:33], s[0:1], v[88:89] op_sel:[0,0,1] op_sel_hi:[1,0,0] neg_lo:[0,0,1] neg_hi:[0,0,1]
	v_mov_b32_e32 v92, v90
	v_mov_b32_e32 v93, v89
	v_pk_add_f32 v[60:61], v[92:93], v[60:61]
	v_pk_mul_f32 v[92:93], v[42:43], s[22:23] op_sel_hi:[1,0]
	v_mov_b32_e32 v77, v79
	v_pk_fma_f32 v[94:95], v[38:39], s[20:21], v[92:93] op_sel:[0,0,1] op_sel_hi:[1,0,0]
	v_pk_fma_f32 v[92:93], v[38:39], s[20:21], v[92:93] op_sel:[0,0,1] op_sel_hi:[1,0,0] neg_lo:[0,0,1] neg_hi:[0,0,1]
	v_pk_add_f32 v[68:69], v[76:77], v[68:69]
	v_mov_b32_e32 v81, v83
	v_mov_b32_e32 v96, v94
	;; [unrolled: 1-line block ×3, first 2 shown]
	v_pk_add_f32 v[68:69], v[80:81], v[68:69]
	v_mov_b32_e32 v85, v87
	v_pk_add_f32 v[60:61], v[96:97], v[60:61]
	v_pk_mul_f32 v[96:97], v[46:47], s[28:29] op_sel_hi:[1,0]
	v_pk_add_f32 v[68:69], v[84:85], v[68:69]
	v_mov_b32_e32 v89, v91
	v_mov_b32_e32 v100, v98
	v_pk_fma_f32 v[98:99], v[44:45], s[2:3], v[96:97] op_sel:[0,0,1] op_sel_hi:[1,0,0]
	v_pk_fma_f32 v[96:97], v[44:45], s[2:3], v[96:97] op_sel:[0,0,1] op_sel_hi:[1,0,0] neg_lo:[0,0,1] neg_hi:[0,0,1]
	v_pk_add_f32 v[68:69], v[88:89], v[68:69]
	v_mov_b32_e32 v93, v95
	v_pk_add_f32 v[64:65], v[100:101], v[64:65]
	v_mov_b32_e32 v101, v97
	;; [unrolled: 2-line block ×3, first 2 shown]
	v_pk_add_f32 v[68:69], v[96:97], v[68:69]
	global_store_dwordx2 v[36:37], v[68:69], off
	v_pk_mul_f32 v[36:37], v[58:59], s[18:19] op_sel_hi:[1,0]
	v_pk_mul_f32 v[72:73], v[26:27], s[28:29] op_sel_hi:[1,0]
	v_pk_fma_f32 v[68:69], v[56:57], s[16:17], v[36:37] op_sel:[0,0,1] op_sel_hi:[1,0,0]
	v_pk_fma_f32 v[70:71], v[56:57], s[16:17], v[36:37] op_sel:[0,0,1] op_sel_hi:[1,0,0] neg_lo:[0,0,1] neg_hi:[0,0,1]
	v_mov_b32_e32 v36, v68
	v_mov_b32_e32 v37, v71
	v_pk_fma_f32 v[74:75], v[24:25], s[2:3], v[72:73] op_sel:[0,0,1] op_sel_hi:[1,0,0]
	v_pk_fma_f32 v[72:73], v[24:25], s[2:3], v[72:73] op_sel:[0,0,1] op_sel_hi:[1,0,0] neg_lo:[0,0,1] neg_hi:[0,0,1]
	v_pk_add_f32 v[36:37], v[0:1], v[36:37]
	v_mov_b32_e32 v76, v74
	v_mov_b32_e32 v77, v73
	v_pk_add_f32 v[36:37], v[76:77], v[36:37]
	v_pk_mul_f32 v[76:77], v[30:31], s[30:31] op_sel_hi:[1,0]
	v_mov_b32_e32 v71, v69
	v_pk_fma_f32 v[78:79], v[28:29], s[6:7], v[76:77] op_sel:[0,0,1] op_sel_hi:[1,0,0]
	v_pk_fma_f32 v[76:77], v[28:29], s[6:7], v[76:77] op_sel:[0,0,1] op_sel_hi:[1,0,0] neg_lo:[0,0,1] neg_hi:[0,0,1]
	v_mov_b32_e32 v80, v78
	v_mov_b32_e32 v81, v77
	v_pk_add_f32 v[36:37], v[80:81], v[36:37]
	v_pk_mul_f32 v[80:81], v[54:55], s[44:45] op_sel_hi:[1,0]
	v_mov_b32_e32 v73, v75
	v_pk_fma_f32 v[82:83], v[48:49], s[12:13], v[80:81] op_sel:[0,0,1] op_sel_hi:[1,0,0]
	v_pk_fma_f32 v[80:81], v[48:49], s[12:13], v[80:81] op_sel:[0,0,1] op_sel_hi:[1,0,0] neg_lo:[0,0,1] neg_hi:[0,0,1]
	v_mov_b32_e32 v84, v82
	v_mov_b32_e32 v85, v81
	v_pk_add_f32 v[36:37], v[84:85], v[36:37]
	v_pk_mul_f32 v[84:85], v[52:53], s[26:27] op_sel_hi:[1,0]
	v_pk_add_f32 v[68:69], v[0:1], v[70:71]
	v_pk_fma_f32 v[86:87], v[50:51], s[4:5], v[84:85] op_sel:[0,0,1] op_sel_hi:[1,0,0]
	v_pk_fma_f32 v[84:85], v[50:51], s[4:5], v[84:85] op_sel:[0,0,1] op_sel_hi:[1,0,0] neg_lo:[0,0,1] neg_hi:[0,0,1]
	v_mov_b32_e32 v88, v86
	v_mov_b32_e32 v89, v85
	v_pk_add_f32 v[36:37], v[88:89], v[36:37]
	v_pk_mul_f32 v[88:89], v[34:35], s[22:23] op_sel_hi:[1,0]
	v_pk_add_f32 v[68:69], v[72:73], v[68:69]
	v_pk_fma_f32 v[90:91], v[32:33], s[20:21], v[88:89] op_sel:[0,0,1] op_sel_hi:[1,0,0]
	v_pk_fma_f32 v[88:89], v[32:33], s[20:21], v[88:89] op_sel:[0,0,1] op_sel_hi:[1,0,0] neg_lo:[0,0,1] neg_hi:[0,0,1]
	v_mov_b32_e32 v92, v90
	v_mov_b32_e32 v93, v89
	v_pk_add_f32 v[36:37], v[92:93], v[36:37]
	v_pk_mul_f32 v[92:93], v[42:43], s[38:39] op_sel_hi:[1,0]
	v_mov_b32_e32 v77, v79
	v_pk_fma_f32 v[94:95], v[38:39], s[0:1], v[92:93] op_sel:[0,0,1] op_sel_hi:[1,0,0]
	v_pk_fma_f32 v[92:93], v[38:39], s[0:1], v[92:93] op_sel:[0,0,1] op_sel_hi:[1,0,0] neg_lo:[0,0,1] neg_hi:[0,0,1]
	v_pk_add_f32 v[68:69], v[76:77], v[68:69]
	v_mov_b32_e32 v81, v83
	v_mov_b32_e32 v96, v94
	;; [unrolled: 1-line block ×3, first 2 shown]
	v_pk_add_f32 v[68:69], v[80:81], v[68:69]
	v_mov_b32_e32 v85, v87
	v_pk_add_f32 v[36:37], v[96:97], v[36:37]
	v_pk_mul_f32 v[96:97], v[46:47], s[10:11] op_sel_hi:[1,0]
	v_pk_add_f32 v[68:69], v[84:85], v[68:69]
	v_mov_b32_e32 v89, v91
	v_mov_b32_e32 v100, v98
	v_pk_fma_f32 v[98:99], v[44:45], s[8:9], v[96:97] op_sel:[0,0,1] op_sel_hi:[1,0,0]
	v_pk_fma_f32 v[96:97], v[44:45], s[8:9], v[96:97] op_sel:[0,0,1] op_sel_hi:[1,0,0] neg_lo:[0,0,1] neg_hi:[0,0,1]
	v_pk_add_f32 v[68:69], v[88:89], v[68:69]
	v_mov_b32_e32 v93, v95
	v_pk_add_f32 v[60:61], v[100:101], v[60:61]
	v_mov_b32_e32 v101, v97
	;; [unrolled: 2-line block ×3, first 2 shown]
	v_pk_add_f32 v[68:69], v[96:97], v[68:69]
	global_store_dwordx2 v[22:23], v[68:69], off
	v_pk_mul_f32 v[22:23], v[58:59], s[22:23] op_sel_hi:[1,0]
	v_pk_mul_f32 v[26:27], v[26:27], s[34:35] op_sel_hi:[1,0]
	v_pk_fma_f32 v[58:59], v[56:57], s[20:21], v[22:23] op_sel:[0,0,1] op_sel_hi:[1,0,0]
	v_pk_fma_f32 v[22:23], v[56:57], s[20:21], v[22:23] op_sel:[0,0,1] op_sel_hi:[1,0,0] neg_lo:[0,0,1] neg_hi:[0,0,1]
	v_mov_b32_e32 v56, v58
	v_mov_b32_e32 v57, v23
	v_pk_fma_f32 v[68:69], v[24:25], s[4:5], v[26:27] op_sel:[0,0,1] op_sel_hi:[1,0,0]
	v_pk_fma_f32 v[24:25], v[24:25], s[4:5], v[26:27] op_sel:[0,0,1] op_sel_hi:[1,0,0] neg_lo:[0,0,1] neg_hi:[0,0,1]
	v_pk_add_f32 v[56:57], v[0:1], v[56:57]
	v_mov_b32_e32 v26, v68
	v_mov_b32_e32 v27, v25
	v_pk_mul_f32 v[30:31], v[30:31], s[18:19] op_sel_hi:[1,0]
	v_pk_add_f32 v[26:27], v[26:27], v[56:57]
	v_pk_fma_f32 v[56:57], v[28:29], s[16:17], v[30:31] op_sel:[0,0,1] op_sel_hi:[1,0,0]
	v_pk_fma_f32 v[28:29], v[28:29], s[16:17], v[30:31] op_sel:[0,0,1] op_sel_hi:[1,0,0] neg_lo:[0,0,1] neg_hi:[0,0,1]
	v_mov_b32_e32 v30, v56
	v_mov_b32_e32 v31, v29
	v_pk_add_f32 v[26:27], v[30:31], v[26:27]
	v_pk_mul_f32 v[30:31], v[54:55], s[38:39] op_sel_hi:[1,0]
	v_pk_mul_f32 v[34:35], v[34:35], s[28:29] op_sel_hi:[1,0]
	v_pk_fma_f32 v[54:55], v[48:49], s[0:1], v[30:31] op_sel:[0,0,1] op_sel_hi:[1,0,0]
	v_pk_fma_f32 v[30:31], v[48:49], s[0:1], v[30:31] op_sel:[0,0,1] op_sel_hi:[1,0,0] neg_lo:[0,0,1] neg_hi:[0,0,1]
	v_mov_b32_e32 v48, v54
	v_mov_b32_e32 v49, v31
	v_pk_add_f32 v[26:27], v[48:49], v[26:27]
	v_pk_mul_f32 v[48:49], v[52:53], s[14:15] op_sel_hi:[1,0]
	v_mov_b32_e32 v23, v59
	v_pk_fma_f32 v[52:53], v[50:51], s[12:13], v[48:49] op_sel:[0,0,1] op_sel_hi:[1,0,0]
	v_pk_fma_f32 v[48:49], v[50:51], s[12:13], v[48:49] op_sel:[0,0,1] op_sel_hi:[1,0,0] neg_lo:[0,0,1] neg_hi:[0,0,1]
	v_mov_b32_e32 v50, v52
	v_mov_b32_e32 v51, v49
	v_pk_add_f32 v[26:27], v[50:51], v[26:27]
	v_pk_fma_f32 v[50:51], v[32:33], s[2:3], v[34:35] op_sel:[0,0,1] op_sel_hi:[1,0,0]
	v_pk_fma_f32 v[32:33], v[32:33], s[2:3], v[34:35] op_sel:[0,0,1] op_sel_hi:[1,0,0] neg_lo:[0,0,1] neg_hi:[0,0,1]
	v_mov_b32_e32 v34, v50
	v_mov_b32_e32 v35, v33
	v_pk_add_f32 v[0:1], v[0:1], v[22:23]
	v_mov_b32_e32 v25, v69
	v_pk_add_f32 v[26:27], v[34:35], v[26:27]
	v_pk_mul_f32 v[34:35], v[42:43], s[10:11] op_sel_hi:[1,0]
	v_pk_add_f32 v[0:1], v[24:25], v[0:1]
	v_mov_b32_e32 v29, v57
	v_pk_fma_f32 v[42:43], v[38:39], s[8:9], v[34:35] op_sel:[0,0,1] op_sel_hi:[1,0,0]
	v_pk_fma_f32 v[34:35], v[38:39], s[8:9], v[34:35] op_sel:[0,0,1] op_sel_hi:[1,0,0] neg_lo:[0,0,1] neg_hi:[0,0,1]
	v_pk_add_f32 v[0:1], v[28:29], v[0:1]
	v_mov_b32_e32 v31, v55
	v_mov_b32_e32 v38, v42
	;; [unrolled: 1-line block ×3, first 2 shown]
	v_pk_add_f32 v[0:1], v[30:31], v[0:1]
	v_mov_b32_e32 v49, v53
	v_pk_add_f32 v[26:27], v[38:39], v[26:27]
	v_pk_mul_f32 v[38:39], v[46:47], s[36:37] op_sel_hi:[1,0]
	v_pk_add_f32 v[0:1], v[48:49], v[0:1]
	v_mov_b32_e32 v33, v51
	v_pk_fma_f32 v[46:47], v[44:45], s[6:7], v[38:39] op_sel:[0,0,1] op_sel_hi:[1,0,0]
	v_pk_fma_f32 v[38:39], v[44:45], s[6:7], v[38:39] op_sel:[0,0,1] op_sel_hi:[1,0,0] neg_lo:[0,0,1] neg_hi:[0,0,1]
	v_pk_add_f32 v[0:1], v[32:33], v[0:1]
	v_mov_b32_e32 v35, v43
	v_mov_b32_e32 v45, v39
	v_pk_add_f32 v[0:1], v[34:35], v[0:1]
	v_mov_b32_e32 v39, v47
	v_mov_b32_e32 v100, v98
	;; [unrolled: 1-line block ×3, first 2 shown]
	v_pk_add_f32 v[0:1], v[38:39], v[0:1]
	v_pk_add_f32 v[36:37], v[100:101], v[36:37]
	v_pk_add_f32 v[26:27], v[44:45], v[26:27]
	global_store_dwordx2 v[4:5], v[0:1], off
	global_store_dwordx2 v[6:7], v[26:27], off
	;; [unrolled: 1-line block ×9, first 2 shown]
	s_endpgm
	.section	.rodata,"a",@progbits
	.p2align	6, 0x0
	.amdhsa_kernel fft_rtc_fwd_len17_factors_17_wgs_120_tpt_1_sp_op_CI_CI_sbrc_xy_z_aligned_dirReg
		.amdhsa_group_segment_fixed_size 0
		.amdhsa_private_segment_fixed_size 0
		.amdhsa_kernarg_size 104
		.amdhsa_user_sgpr_count 2
		.amdhsa_user_sgpr_dispatch_ptr 0
		.amdhsa_user_sgpr_queue_ptr 0
		.amdhsa_user_sgpr_kernarg_segment_ptr 1
		.amdhsa_user_sgpr_dispatch_id 0
		.amdhsa_user_sgpr_kernarg_preload_length 0
		.amdhsa_user_sgpr_kernarg_preload_offset 0
		.amdhsa_user_sgpr_private_segment_size 0
		.amdhsa_uses_dynamic_stack 0
		.amdhsa_enable_private_segment 0
		.amdhsa_system_sgpr_workgroup_id_x 1
		.amdhsa_system_sgpr_workgroup_id_y 0
		.amdhsa_system_sgpr_workgroup_id_z 0
		.amdhsa_system_sgpr_workgroup_info 0
		.amdhsa_system_vgpr_workitem_id 0
		.amdhsa_next_free_vgpr 102
		.amdhsa_next_free_sgpr 46
		.amdhsa_accum_offset 104
		.amdhsa_reserve_vcc 1
		.amdhsa_float_round_mode_32 0
		.amdhsa_float_round_mode_16_64 0
		.amdhsa_float_denorm_mode_32 3
		.amdhsa_float_denorm_mode_16_64 3
		.amdhsa_dx10_clamp 1
		.amdhsa_ieee_mode 1
		.amdhsa_fp16_overflow 0
		.amdhsa_tg_split 0
		.amdhsa_exception_fp_ieee_invalid_op 0
		.amdhsa_exception_fp_denorm_src 0
		.amdhsa_exception_fp_ieee_div_zero 0
		.amdhsa_exception_fp_ieee_overflow 0
		.amdhsa_exception_fp_ieee_underflow 0
		.amdhsa_exception_fp_ieee_inexact 0
		.amdhsa_exception_int_div_zero 0
	.end_amdhsa_kernel
	.text
.Lfunc_end0:
	.size	fft_rtc_fwd_len17_factors_17_wgs_120_tpt_1_sp_op_CI_CI_sbrc_xy_z_aligned_dirReg, .Lfunc_end0-fft_rtc_fwd_len17_factors_17_wgs_120_tpt_1_sp_op_CI_CI_sbrc_xy_z_aligned_dirReg
                                        ; -- End function
	.section	.AMDGPU.csdata,"",@progbits
; Kernel info:
; codeLenInByte = 7188
; NumSgprs: 52
; NumVgprs: 102
; NumAgprs: 0
; TotalNumVgprs: 102
; ScratchSize: 0
; MemoryBound: 0
; FloatMode: 240
; IeeeMode: 1
; LDSByteSize: 0 bytes/workgroup (compile time only)
; SGPRBlocks: 6
; VGPRBlocks: 12
; NumSGPRsForWavesPerEU: 52
; NumVGPRsForWavesPerEU: 102
; AccumOffset: 104
; Occupancy: 4
; WaveLimiterHint : 1
; COMPUTE_PGM_RSRC2:SCRATCH_EN: 0
; COMPUTE_PGM_RSRC2:USER_SGPR: 2
; COMPUTE_PGM_RSRC2:TRAP_HANDLER: 0
; COMPUTE_PGM_RSRC2:TGID_X_EN: 1
; COMPUTE_PGM_RSRC2:TGID_Y_EN: 0
; COMPUTE_PGM_RSRC2:TGID_Z_EN: 0
; COMPUTE_PGM_RSRC2:TIDIG_COMP_CNT: 0
; COMPUTE_PGM_RSRC3_GFX90A:ACCUM_OFFSET: 25
; COMPUTE_PGM_RSRC3_GFX90A:TG_SPLIT: 0
	.text
	.p2alignl 6, 3212836864
	.fill 256, 4, 3212836864
	.type	__hip_cuid_5fb8ced611bbb365,@object ; @__hip_cuid_5fb8ced611bbb365
	.section	.bss,"aw",@nobits
	.globl	__hip_cuid_5fb8ced611bbb365
__hip_cuid_5fb8ced611bbb365:
	.byte	0                               ; 0x0
	.size	__hip_cuid_5fb8ced611bbb365, 1

	.ident	"AMD clang version 19.0.0git (https://github.com/RadeonOpenCompute/llvm-project roc-6.4.0 25133 c7fe45cf4b819c5991fe208aaa96edf142730f1d)"
	.section	".note.GNU-stack","",@progbits
	.addrsig
	.addrsig_sym __hip_cuid_5fb8ced611bbb365
	.amdgpu_metadata
---
amdhsa.kernels:
  - .agpr_count:     0
    .args:
      - .actual_access:  read_only
        .address_space:  global
        .offset:         0
        .size:           8
        .value_kind:     global_buffer
      - .offset:         8
        .size:           8
        .value_kind:     by_value
      - .actual_access:  read_only
        .address_space:  global
        .offset:         16
        .size:           8
        .value_kind:     global_buffer
      - .actual_access:  read_only
        .address_space:  global
        .offset:         24
        .size:           8
        .value_kind:     global_buffer
      - .actual_access:  read_only
        .address_space:  global
        .offset:         32
        .size:           8
        .value_kind:     global_buffer
      - .offset:         40
        .size:           8
        .value_kind:     by_value
      - .actual_access:  read_only
        .address_space:  global
        .offset:         48
        .size:           8
        .value_kind:     global_buffer
      - .actual_access:  read_only
        .address_space:  global
        .offset:         56
        .size:           8
        .value_kind:     global_buffer
      - .offset:         64
        .size:           4
        .value_kind:     by_value
      - .actual_access:  read_only
        .address_space:  global
        .offset:         72
        .size:           8
        .value_kind:     global_buffer
      - .actual_access:  read_only
        .address_space:  global
        .offset:         80
        .size:           8
        .value_kind:     global_buffer
      - .actual_access:  read_only
        .address_space:  global
        .offset:         88
        .size:           8
        .value_kind:     global_buffer
      - .actual_access:  write_only
        .address_space:  global
        .offset:         96
        .size:           8
        .value_kind:     global_buffer
    .group_segment_fixed_size: 0
    .kernarg_segment_align: 8
    .kernarg_segment_size: 104
    .language:       OpenCL C
    .language_version:
      - 2
      - 0
    .max_flat_workgroup_size: 120
    .name:           fft_rtc_fwd_len17_factors_17_wgs_120_tpt_1_sp_op_CI_CI_sbrc_xy_z_aligned_dirReg
    .private_segment_fixed_size: 0
    .sgpr_count:     52
    .sgpr_spill_count: 0
    .symbol:         fft_rtc_fwd_len17_factors_17_wgs_120_tpt_1_sp_op_CI_CI_sbrc_xy_z_aligned_dirReg.kd
    .uniform_work_group_size: 1
    .uses_dynamic_stack: false
    .vgpr_count:     102
    .vgpr_spill_count: 0
    .wavefront_size: 64
amdhsa.target:   amdgcn-amd-amdhsa--gfx950
amdhsa.version:
  - 1
  - 2
...

	.end_amdgpu_metadata
